;; amdgpu-corpus repo=ROCm/rocFFT kind=compiled arch=gfx1030 opt=O3
	.text
	.amdgcn_target "amdgcn-amd-amdhsa--gfx1030"
	.amdhsa_code_object_version 6
	.protected	fft_rtc_back_len1620_factors_10_3_3_6_3_wgs_162_tpt_162_halfLds_dp_ip_CI_unitstride_sbrr_C2R_dirReg ; -- Begin function fft_rtc_back_len1620_factors_10_3_3_6_3_wgs_162_tpt_162_halfLds_dp_ip_CI_unitstride_sbrr_C2R_dirReg
	.globl	fft_rtc_back_len1620_factors_10_3_3_6_3_wgs_162_tpt_162_halfLds_dp_ip_CI_unitstride_sbrr_C2R_dirReg
	.p2align	8
	.type	fft_rtc_back_len1620_factors_10_3_3_6_3_wgs_162_tpt_162_halfLds_dp_ip_CI_unitstride_sbrr_C2R_dirReg,@function
fft_rtc_back_len1620_factors_10_3_3_6_3_wgs_162_tpt_162_halfLds_dp_ip_CI_unitstride_sbrr_C2R_dirReg: ; @fft_rtc_back_len1620_factors_10_3_3_6_3_wgs_162_tpt_162_halfLds_dp_ip_CI_unitstride_sbrr_C2R_dirReg
; %bb.0:
	s_clause 0x2
	s_load_dwordx4 s[8:11], s[4:5], 0x0
	s_load_dwordx2 s[12:13], s[4:5], 0x50
	s_load_dwordx2 s[2:3], s[4:5], 0x18
	v_mul_u32_u24_e32 v1, 0x195, v0
	v_mov_b32_e32 v3, 0
	v_add_nc_u32_sdwa v5, s6, v1 dst_sel:DWORD dst_unused:UNUSED_PAD src0_sel:DWORD src1_sel:WORD_1
	v_mov_b32_e32 v1, 0
	v_mov_b32_e32 v6, v3
	v_mov_b32_e32 v2, 0
	s_waitcnt lgkmcnt(0)
	v_cmp_lt_u64_e64 s0, s[10:11], 2
	s_and_b32 vcc_lo, exec_lo, s0
	s_cbranch_vccnz .LBB0_8
; %bb.1:
	s_load_dwordx2 s[0:1], s[4:5], 0x10
	v_mov_b32_e32 v1, 0
	s_add_u32 s6, s2, 8
	v_mov_b32_e32 v2, 0
	s_addc_u32 s7, s3, 0
	s_mov_b64 s[16:17], 1
	s_waitcnt lgkmcnt(0)
	s_add_u32 s14, s0, 8
	s_addc_u32 s15, s1, 0
.LBB0_2:                                ; =>This Inner Loop Header: Depth=1
	s_load_dwordx2 s[18:19], s[14:15], 0x0
                                        ; implicit-def: $vgpr7_vgpr8
	s_mov_b32 s0, exec_lo
	s_waitcnt lgkmcnt(0)
	v_or_b32_e32 v4, s19, v6
	v_cmpx_ne_u64_e32 0, v[3:4]
	s_xor_b32 s1, exec_lo, s0
	s_cbranch_execz .LBB0_4
; %bb.3:                                ;   in Loop: Header=BB0_2 Depth=1
	v_cvt_f32_u32_e32 v4, s18
	v_cvt_f32_u32_e32 v7, s19
	s_sub_u32 s0, 0, s18
	s_subb_u32 s20, 0, s19
	v_fmac_f32_e32 v4, 0x4f800000, v7
	v_rcp_f32_e32 v4, v4
	v_mul_f32_e32 v4, 0x5f7ffffc, v4
	v_mul_f32_e32 v7, 0x2f800000, v4
	v_trunc_f32_e32 v7, v7
	v_fmac_f32_e32 v4, 0xcf800000, v7
	v_cvt_u32_f32_e32 v7, v7
	v_cvt_u32_f32_e32 v4, v4
	v_mul_lo_u32 v8, s0, v7
	v_mul_hi_u32 v9, s0, v4
	v_mul_lo_u32 v10, s20, v4
	v_add_nc_u32_e32 v8, v9, v8
	v_mul_lo_u32 v9, s0, v4
	v_add_nc_u32_e32 v8, v8, v10
	v_mul_hi_u32 v10, v4, v9
	v_mul_lo_u32 v11, v4, v8
	v_mul_hi_u32 v12, v4, v8
	v_mul_hi_u32 v13, v7, v9
	v_mul_lo_u32 v9, v7, v9
	v_mul_hi_u32 v14, v7, v8
	v_mul_lo_u32 v8, v7, v8
	v_add_co_u32 v10, vcc_lo, v10, v11
	v_add_co_ci_u32_e32 v11, vcc_lo, 0, v12, vcc_lo
	v_add_co_u32 v9, vcc_lo, v10, v9
	v_add_co_ci_u32_e32 v9, vcc_lo, v11, v13, vcc_lo
	v_add_co_ci_u32_e32 v10, vcc_lo, 0, v14, vcc_lo
	v_add_co_u32 v8, vcc_lo, v9, v8
	v_add_co_ci_u32_e32 v9, vcc_lo, 0, v10, vcc_lo
	v_add_co_u32 v4, vcc_lo, v4, v8
	v_add_co_ci_u32_e32 v7, vcc_lo, v7, v9, vcc_lo
	v_mul_hi_u32 v8, s0, v4
	v_mul_lo_u32 v10, s20, v4
	v_mul_lo_u32 v9, s0, v7
	v_add_nc_u32_e32 v8, v8, v9
	v_mul_lo_u32 v9, s0, v4
	v_add_nc_u32_e32 v8, v8, v10
	v_mul_hi_u32 v10, v4, v9
	v_mul_lo_u32 v11, v4, v8
	v_mul_hi_u32 v12, v4, v8
	v_mul_hi_u32 v13, v7, v9
	v_mul_lo_u32 v9, v7, v9
	v_mul_hi_u32 v14, v7, v8
	v_mul_lo_u32 v8, v7, v8
	v_add_co_u32 v10, vcc_lo, v10, v11
	v_add_co_ci_u32_e32 v11, vcc_lo, 0, v12, vcc_lo
	v_add_co_u32 v9, vcc_lo, v10, v9
	v_add_co_ci_u32_e32 v9, vcc_lo, v11, v13, vcc_lo
	v_add_co_ci_u32_e32 v10, vcc_lo, 0, v14, vcc_lo
	v_add_co_u32 v8, vcc_lo, v9, v8
	v_add_co_ci_u32_e32 v9, vcc_lo, 0, v10, vcc_lo
	v_add_co_u32 v4, vcc_lo, v4, v8
	v_add_co_ci_u32_e32 v11, vcc_lo, v7, v9, vcc_lo
	v_mul_hi_u32 v13, v5, v4
	v_mad_u64_u32 v[9:10], null, v6, v4, 0
	v_mad_u64_u32 v[7:8], null, v5, v11, 0
	;; [unrolled: 1-line block ×3, first 2 shown]
	v_add_co_u32 v4, vcc_lo, v13, v7
	v_add_co_ci_u32_e32 v7, vcc_lo, 0, v8, vcc_lo
	v_add_co_u32 v4, vcc_lo, v4, v9
	v_add_co_ci_u32_e32 v4, vcc_lo, v7, v10, vcc_lo
	v_add_co_ci_u32_e32 v7, vcc_lo, 0, v12, vcc_lo
	v_add_co_u32 v4, vcc_lo, v4, v11
	v_add_co_ci_u32_e32 v9, vcc_lo, 0, v7, vcc_lo
	v_mul_lo_u32 v10, s19, v4
	v_mad_u64_u32 v[7:8], null, s18, v4, 0
	v_mul_lo_u32 v11, s18, v9
	v_sub_co_u32 v7, vcc_lo, v5, v7
	v_add3_u32 v8, v8, v11, v10
	v_sub_nc_u32_e32 v10, v6, v8
	v_subrev_co_ci_u32_e64 v10, s0, s19, v10, vcc_lo
	v_add_co_u32 v11, s0, v4, 2
	v_add_co_ci_u32_e64 v12, s0, 0, v9, s0
	v_sub_co_u32 v13, s0, v7, s18
	v_sub_co_ci_u32_e32 v8, vcc_lo, v6, v8, vcc_lo
	v_subrev_co_ci_u32_e64 v10, s0, 0, v10, s0
	v_cmp_le_u32_e32 vcc_lo, s18, v13
	v_cmp_eq_u32_e64 s0, s19, v8
	v_cndmask_b32_e64 v13, 0, -1, vcc_lo
	v_cmp_le_u32_e32 vcc_lo, s19, v10
	v_cndmask_b32_e64 v14, 0, -1, vcc_lo
	v_cmp_le_u32_e32 vcc_lo, s18, v7
	;; [unrolled: 2-line block ×3, first 2 shown]
	v_cndmask_b32_e64 v15, 0, -1, vcc_lo
	v_cmp_eq_u32_e32 vcc_lo, s19, v10
	v_cndmask_b32_e64 v7, v15, v7, s0
	v_cndmask_b32_e32 v10, v14, v13, vcc_lo
	v_add_co_u32 v13, vcc_lo, v4, 1
	v_add_co_ci_u32_e32 v14, vcc_lo, 0, v9, vcc_lo
	v_cmp_ne_u32_e32 vcc_lo, 0, v10
	v_cndmask_b32_e32 v8, v14, v12, vcc_lo
	v_cndmask_b32_e32 v10, v13, v11, vcc_lo
	v_cmp_ne_u32_e32 vcc_lo, 0, v7
	v_cndmask_b32_e32 v8, v9, v8, vcc_lo
	v_cndmask_b32_e32 v7, v4, v10, vcc_lo
.LBB0_4:                                ;   in Loop: Header=BB0_2 Depth=1
	s_andn2_saveexec_b32 s0, s1
	s_cbranch_execz .LBB0_6
; %bb.5:                                ;   in Loop: Header=BB0_2 Depth=1
	v_cvt_f32_u32_e32 v4, s18
	s_sub_i32 s1, 0, s18
	v_rcp_iflag_f32_e32 v4, v4
	v_mul_f32_e32 v4, 0x4f7ffffe, v4
	v_cvt_u32_f32_e32 v4, v4
	v_mul_lo_u32 v7, s1, v4
	v_mul_hi_u32 v7, v4, v7
	v_add_nc_u32_e32 v4, v4, v7
	v_mul_hi_u32 v4, v5, v4
	v_mul_lo_u32 v7, v4, s18
	v_add_nc_u32_e32 v8, 1, v4
	v_sub_nc_u32_e32 v7, v5, v7
	v_subrev_nc_u32_e32 v9, s18, v7
	v_cmp_le_u32_e32 vcc_lo, s18, v7
	v_cndmask_b32_e32 v7, v7, v9, vcc_lo
	v_cndmask_b32_e32 v4, v4, v8, vcc_lo
	v_cmp_le_u32_e32 vcc_lo, s18, v7
	v_add_nc_u32_e32 v8, 1, v4
	v_cndmask_b32_e32 v7, v4, v8, vcc_lo
	v_mov_b32_e32 v8, v3
.LBB0_6:                                ;   in Loop: Header=BB0_2 Depth=1
	s_or_b32 exec_lo, exec_lo, s0
	s_load_dwordx2 s[0:1], s[6:7], 0x0
	v_mul_lo_u32 v4, v8, s18
	v_mul_lo_u32 v11, v7, s19
	v_mad_u64_u32 v[9:10], null, v7, s18, 0
	s_add_u32 s16, s16, 1
	s_addc_u32 s17, s17, 0
	s_add_u32 s6, s6, 8
	s_addc_u32 s7, s7, 0
	;; [unrolled: 2-line block ×3, first 2 shown]
	v_add3_u32 v4, v10, v11, v4
	v_sub_co_u32 v5, vcc_lo, v5, v9
	v_sub_co_ci_u32_e32 v4, vcc_lo, v6, v4, vcc_lo
	s_waitcnt lgkmcnt(0)
	v_mul_lo_u32 v6, s1, v5
	v_mul_lo_u32 v4, s0, v4
	v_mad_u64_u32 v[1:2], null, s0, v5, v[1:2]
	v_cmp_ge_u64_e64 s0, s[16:17], s[10:11]
	s_and_b32 vcc_lo, exec_lo, s0
	v_add3_u32 v2, v6, v2, v4
	s_cbranch_vccnz .LBB0_9
; %bb.7:                                ;   in Loop: Header=BB0_2 Depth=1
	v_mov_b32_e32 v5, v7
	v_mov_b32_e32 v6, v8
	s_branch .LBB0_2
.LBB0_8:
	v_mov_b32_e32 v8, v6
	v_mov_b32_e32 v7, v5
.LBB0_9:
	s_lshl_b64 s[0:1], s[10:11], 3
	v_mul_hi_u32 v5, 0x1948b10, v0
	s_add_u32 s0, s2, s0
	s_addc_u32 s1, s3, s1
	s_load_dwordx2 s[0:1], s[0:1], 0x0
	s_load_dwordx2 s[2:3], s[4:5], 0x20
	s_waitcnt lgkmcnt(0)
	v_mul_lo_u32 v3, s0, v8
	v_mul_lo_u32 v4, s1, v7
	v_mad_u64_u32 v[1:2], null, s0, v7, v[1:2]
	v_cmp_gt_u64_e32 vcc_lo, s[2:3], v[7:8]
	v_add3_u32 v2, v4, v2, v3
	v_mul_u32_u24_e32 v3, 0xa2, v5
	v_lshlrev_b64 v[50:51], 4, v[1:2]
	v_sub_nc_u32_e32 v48, v0, v3
	s_and_saveexec_b32 s1, vcc_lo
	s_cbranch_execz .LBB0_13
; %bb.10:
	v_mov_b32_e32 v49, 0
	v_add_co_u32 v0, s0, s12, v50
	v_add_co_ci_u32_e64 v1, s0, s13, v51, s0
	v_lshlrev_b64 v[2:3], 4, v[48:49]
	v_lshl_add_u32 v42, v48, 4, 0
	s_mov_b32 s2, exec_lo
	v_add_co_u32 v18, s0, v0, v2
	v_add_co_ci_u32_e64 v19, s0, v1, v3, s0
	v_add_co_u32 v6, s0, 0x800, v18
	v_add_co_ci_u32_e64 v7, s0, 0, v19, s0
	;; [unrolled: 2-line block ×10, first 2 shown]
	s_clause 0x9
	global_load_dwordx4 v[2:5], v[18:19], off
	global_load_dwordx4 v[6:9], v[6:7], off offset:544
	global_load_dwordx4 v[10:13], v[10:11], off offset:1088
	;; [unrolled: 1-line block ×9, first 2 shown]
	s_waitcnt vmcnt(9)
	ds_write_b128 v42, v[2:5]
	s_waitcnt vmcnt(8)
	ds_write_b128 v42, v[6:9] offset:2592
	s_waitcnt vmcnt(7)
	ds_write_b128 v42, v[10:13] offset:5184
	;; [unrolled: 2-line block ×9, first 2 shown]
	v_cmpx_eq_u32_e32 0xa1, v48
	s_cbranch_execz .LBB0_12
; %bb.11:
	v_add_co_u32 v0, s0, 0x6000, v0
	v_add_co_ci_u32_e64 v1, s0, 0, v1, s0
	v_mov_b32_e32 v48, 0xa1
	global_load_dwordx4 v[0:3], v[0:1], off offset:1344
	s_waitcnt vmcnt(0)
	ds_write_b128 v49, v[0:3] offset:25920
.LBB0_12:
	s_or_b32 exec_lo, exec_lo, s2
.LBB0_13:
	s_or_b32 exec_lo, exec_lo, s1
	v_lshlrev_b32_e32 v0, 4, v48
	s_waitcnt lgkmcnt(0)
	s_barrier
	buffer_gl0_inv
	s_add_u32 s1, s8, 0x64a0
	v_add_nc_u32_e32 v59, 0, v0
	v_sub_nc_u32_e32 v8, 0, v0
	s_addc_u32 s2, s9, 0
	s_mov_b32 s3, exec_lo
	ds_read_b64 v[4:5], v59
	ds_read_b64 v[6:7], v8 offset:25920
	s_waitcnt lgkmcnt(0)
	v_add_f64 v[0:1], v[4:5], v[6:7]
	v_add_f64 v[2:3], v[4:5], -v[6:7]
	v_cmpx_ne_u32_e32 0, v48
	s_xor_b32 s3, exec_lo, s3
	s_cbranch_execz .LBB0_15
; %bb.14:
	v_mov_b32_e32 v49, 0
	v_add_f64 v[13:14], v[4:5], v[6:7]
	v_add_f64 v[15:16], v[4:5], -v[6:7]
	v_lshlrev_b64 v[0:1], 4, v[48:49]
	v_add_co_u32 v0, s0, s1, v0
	v_add_co_ci_u32_e64 v1, s0, s2, v1, s0
	global_load_dwordx4 v[9:12], v[0:1], off
	ds_read_b64 v[0:1], v8 offset:25928
	ds_read_b64 v[2:3], v59 offset:8
	s_waitcnt lgkmcnt(0)
	v_add_f64 v[4:5], v[0:1], v[2:3]
	v_add_f64 v[0:1], v[2:3], -v[0:1]
	s_waitcnt vmcnt(0)
	v_fma_f64 v[2:3], v[15:16], v[11:12], v[13:14]
	v_fma_f64 v[6:7], -v[15:16], v[11:12], v[13:14]
	v_fma_f64 v[13:14], v[4:5], v[11:12], -v[0:1]
	v_fma_f64 v[11:12], v[4:5], v[11:12], v[0:1]
	v_fma_f64 v[0:1], -v[4:5], v[9:10], v[2:3]
	v_fma_f64 v[4:5], v[4:5], v[9:10], v[6:7]
	v_fma_f64 v[6:7], v[15:16], v[9:10], v[13:14]
	;; [unrolled: 1-line block ×3, first 2 shown]
	ds_write_b128 v8, v[4:7] offset:25920
.LBB0_15:
	s_andn2_saveexec_b32 s0, s3
	s_cbranch_execz .LBB0_17
; %bb.16:
	v_mov_b32_e32 v9, 0
	ds_read_b128 v[4:7], v9 offset:12960
	s_waitcnt lgkmcnt(0)
	v_add_f64 v[4:5], v[4:5], v[4:5]
	v_mul_f64 v[6:7], v[6:7], -2.0
	ds_write_b128 v9, v[4:7] offset:12960
.LBB0_17:
	s_or_b32 exec_lo, exec_lo, s0
	v_add_nc_u32_e32 v54, 0xa2, v48
	v_mov_b32_e32 v55, 0
	v_add_nc_u32_e32 v56, 0x144, v48
	v_add_nc_u32_e32 v52, 0x1e6, v48
	;; [unrolled: 1-line block ×3, first 2 shown]
	ds_write_b128 v59, v[0:3]
	v_lshlrev_b64 v[4:5], 4, v[54:55]
	v_mov_b32_e32 v57, v55
	v_mov_b32_e32 v53, v55
	;; [unrolled: 1-line block ×3, first 2 shown]
	s_mov_b32 s3, 0x3fee6f0e
	s_mov_b32 s10, 0x4755a5e
	v_add_co_u32 v4, s0, s1, v4
	v_add_co_ci_u32_e64 v5, s0, s2, v5, s0
	v_lshlrev_b64 v[9:10], 4, v[56:57]
	v_lshlrev_b64 v[13:14], 4, v[52:53]
	;; [unrolled: 1-line block ×3, first 2 shown]
	global_load_dwordx4 v[4:7], v[4:5], off
	s_mov_b32 s11, 0xbfe2cf23
	s_mov_b32 s5, 0x3fe2cf23
	v_add_co_u32 v9, s0, s1, v9
	v_add_co_ci_u32_e64 v10, s0, s2, v10, s0
	v_add_co_u32 v13, s0, s1, v13
	v_add_co_ci_u32_e64 v14, s0, s2, v14, s0
	global_load_dwordx4 v[9:12], v[9:10], off
	v_add_co_u32 v21, s0, s1, v17
	global_load_dwordx4 v[13:16], v[13:14], off
	v_add_co_ci_u32_e64 v22, s0, s2, v18, s0
	ds_read_b128 v[0:3], v59 offset:2592
	ds_read_b128 v[17:20], v8 offset:23328
	s_mov_b32 s0, 0x134454ff
	s_mov_b32 s1, 0xbfee6f0e
	global_load_dwordx4 v[21:24], v[21:22], off
	s_mov_b32 s2, s0
	s_mov_b32 s4, s10
	;; [unrolled: 1-line block ×10, first 2 shown]
	s_waitcnt lgkmcnt(0)
	v_add_f64 v[25:26], v[0:1], v[17:18]
	v_add_f64 v[27:28], v[19:20], v[2:3]
	v_add_f64 v[29:30], v[0:1], -v[17:18]
	v_add_f64 v[0:1], v[2:3], -v[19:20]
	s_waitcnt vmcnt(3)
	v_fma_f64 v[2:3], v[29:30], v[6:7], v[25:26]
	v_fma_f64 v[17:18], v[27:28], v[6:7], v[0:1]
	v_fma_f64 v[19:20], -v[29:30], v[6:7], v[25:26]
	v_fma_f64 v[6:7], v[27:28], v[6:7], -v[0:1]
	v_fma_f64 v[0:1], -v[27:28], v[4:5], v[2:3]
	v_fma_f64 v[2:3], v[29:30], v[4:5], v[17:18]
	v_fma_f64 v[17:18], v[27:28], v[4:5], v[19:20]
	v_fma_f64 v[19:20], v[29:30], v[4:5], v[6:7]
	ds_write_b128 v59, v[0:3] offset:2592
	ds_write_b128 v8, v[17:20] offset:23328
	ds_read_b128 v[0:3], v59 offset:5184
	ds_read_b128 v[4:7], v8 offset:20736
	s_waitcnt lgkmcnt(0)
	v_add_f64 v[17:18], v[0:1], v[4:5]
	v_add_f64 v[19:20], v[6:7], v[2:3]
	v_add_f64 v[25:26], v[0:1], -v[4:5]
	v_add_f64 v[0:1], v[2:3], -v[6:7]
	s_waitcnt vmcnt(2)
	v_fma_f64 v[2:3], v[25:26], v[11:12], v[17:18]
	v_fma_f64 v[4:5], v[19:20], v[11:12], v[0:1]
	v_fma_f64 v[6:7], -v[25:26], v[11:12], v[17:18]
	v_fma_f64 v[11:12], v[19:20], v[11:12], -v[0:1]
	v_fma_f64 v[0:1], -v[19:20], v[9:10], v[2:3]
	v_fma_f64 v[2:3], v[25:26], v[9:10], v[4:5]
	v_fma_f64 v[4:5], v[19:20], v[9:10], v[6:7]
	v_fma_f64 v[6:7], v[25:26], v[9:10], v[11:12]
	ds_write_b128 v59, v[0:3] offset:5184
	ds_write_b128 v8, v[4:7] offset:20736
	ds_read_b128 v[0:3], v59 offset:7776
	ds_read_b128 v[4:7], v8 offset:18144
	;; [unrolled: 18-line block ×3, first 2 shown]
	s_waitcnt lgkmcnt(0)
	v_add_f64 v[9:10], v[0:1], v[4:5]
	v_add_f64 v[11:12], v[6:7], v[2:3]
	v_add_f64 v[13:14], v[0:1], -v[4:5]
	v_add_f64 v[0:1], v[2:3], -v[6:7]
	s_waitcnt vmcnt(0)
	v_fma_f64 v[2:3], v[13:14], v[23:24], v[9:10]
	v_fma_f64 v[4:5], v[11:12], v[23:24], v[0:1]
	v_fma_f64 v[6:7], -v[13:14], v[23:24], v[9:10]
	v_fma_f64 v[9:10], v[11:12], v[23:24], -v[0:1]
	v_fma_f64 v[0:1], -v[11:12], v[21:22], v[2:3]
	v_fma_f64 v[2:3], v[13:14], v[21:22], v[4:5]
	v_fma_f64 v[4:5], v[11:12], v[21:22], v[6:7]
	;; [unrolled: 1-line block ×3, first 2 shown]
	ds_write_b128 v59, v[0:3] offset:10368
	ds_write_b128 v8, v[4:7] offset:15552
	s_waitcnt lgkmcnt(0)
	s_barrier
	buffer_gl0_inv
	s_barrier
	buffer_gl0_inv
	ds_read_b128 v[0:3], v59
	ds_read_b128 v[4:7], v59 offset:10368
	ds_read_b128 v[8:11], v59 offset:5184
	;; [unrolled: 1-line block ×9, first 2 shown]
	s_waitcnt lgkmcnt(0)
	s_barrier
	buffer_gl0_inv
	v_add_f64 v[40:41], v[0:1], v[8:9]
	v_add_f64 v[42:43], v[2:3], v[10:11]
	;; [unrolled: 1-line block ×9, first 2 shown]
	v_add_f64 v[64:65], v[10:11], -v[22:23]
	v_add_f64 v[66:67], v[8:9], -v[4:5]
	;; [unrolled: 1-line block ×4, first 2 shown]
	v_add_f64 v[76:77], v[16:17], v[24:25]
	v_add_f64 v[10:11], v[6:7], -v[10:11]
	v_add_f64 v[78:79], v[6:7], -v[14:15]
	v_add_f64 v[80:81], v[4:5], -v[12:13]
	v_add_f64 v[82:83], v[20:21], -v[12:13]
	v_add_f64 v[84:85], v[36:37], v[16:17]
	v_add_f64 v[86:87], v[38:39], v[18:19]
	v_add_f64 v[88:89], v[12:13], -v[20:21]
	v_add_f64 v[90:91], v[16:17], -v[28:29]
	v_add_f64 v[4:5], v[40:41], v[4:5]
	v_add_f64 v[6:7], v[42:43], v[6:7]
	v_add_f64 v[40:41], v[28:29], -v[32:33]
	v_fma_f64 v[44:45], v[44:45], -0.5, v[0:1]
	v_fma_f64 v[42:43], v[57:58], -0.5, v[38:39]
	v_add_f64 v[57:58], v[24:25], -v[32:33]
	v_fma_f64 v[0:1], v[46:47], -0.5, v[0:1]
	v_fma_f64 v[46:47], v[60:61], -0.5, v[2:3]
	;; [unrolled: 1-line block ×3, first 2 shown]
	v_add_f64 v[60:61], v[16:17], -v[24:25]
	v_fma_f64 v[38:39], v[70:71], -0.5, v[38:39]
	v_add_f64 v[62:63], v[18:19], -v[26:27]
	v_fma_f64 v[70:71], v[74:75], -0.5, v[36:37]
	v_fma_f64 v[36:37], v[76:77], -0.5, v[36:37]
	v_add_f64 v[16:17], v[28:29], -v[16:17]
	v_add_f64 v[74:75], v[18:19], -v[30:31]
	;; [unrolled: 1-line block ×4, first 2 shown]
	v_add_f64 v[28:29], v[84:85], v[28:29]
	v_add_f64 v[84:85], v[86:87], v[30:31]
	v_add_f64 v[30:31], v[30:31], -v[34:35]
	v_add_f64 v[86:87], v[34:35], -v[26:27]
	v_add_f64 v[66:67], v[66:67], v[82:83]
	v_add_f64 v[68:69], v[68:69], v[88:89]
	v_add_f64 v[8:9], v[8:9], -v[20:21]
	v_add_f64 v[4:5], v[4:5], v[12:13]
	v_fma_f64 v[82:83], v[40:41], s[0:1], v[42:43]
	v_fma_f64 v[42:43], v[40:41], s[2:3], v[42:43]
	v_add_f64 v[57:58], v[90:91], v[57:58]
	v_add_f64 v[6:7], v[6:7], v[14:15]
	v_fma_f64 v[88:89], v[60:61], s[2:3], v[38:39]
	v_fma_f64 v[38:39], v[60:61], s[0:1], v[38:39]
	;; [unrolled: 1-line block ×4, first 2 shown]
	v_add_f64 v[74:75], v[74:75], v[76:77]
	v_add_f64 v[76:77], v[22:23], -v[14:15]
	v_add_f64 v[12:13], v[28:29], v[32:33]
	v_add_f64 v[18:19], v[18:19], v[86:87]
	v_add_f64 v[86:87], v[32:33], -v[24:25]
	v_add_f64 v[20:21], v[4:5], v[20:21]
	v_fma_f64 v[82:83], v[60:61], s[4:5], v[82:83]
	v_fma_f64 v[42:43], v[60:61], s[10:11], v[42:43]
	;; [unrolled: 1-line block ×7, first 2 shown]
	v_add_f64 v[40:41], v[14:15], -v[22:23]
	v_fma_f64 v[30:31], v[30:31], s[4:5], v[70:71]
	v_add_f64 v[14:15], v[84:85], v[34:35]
	v_add_f64 v[22:23], v[6:7], v[22:23]
	;; [unrolled: 1-line block ×3, first 2 shown]
	v_fma_f64 v[76:77], v[64:65], s[0:1], v[44:45]
	v_fma_f64 v[44:45], v[64:65], s[2:3], v[44:45]
	v_add_f64 v[12:13], v[12:13], v[24:25]
	v_add_f64 v[16:17], v[16:17], v[86:87]
	v_fma_f64 v[86:87], v[78:79], s[2:3], v[0:1]
	v_fma_f64 v[0:1], v[78:79], s[0:1], v[0:1]
	;; [unrolled: 1-line block ×13, first 2 shown]
	v_add_f64 v[10:11], v[10:11], v[40:41]
	v_add_f64 v[14:15], v[14:15], v[26:27]
	v_fma_f64 v[28:29], v[78:79], s[10:11], v[76:77]
	v_fma_f64 v[32:33], v[78:79], s[4:5], v[44:45]
	v_add_f64 v[4:5], v[20:21], v[12:13]
	v_fma_f64 v[34:35], v[64:65], s[10:11], v[86:87]
	v_fma_f64 v[0:1], v[64:65], s[4:5], v[0:1]
	v_mul_f64 v[74:75], v[82:83], s[6:7]
	v_fma_f64 v[40:41], v[80:81], s[4:5], v[62:63]
	v_fma_f64 v[44:45], v[80:81], s[10:11], v[46:47]
	;; [unrolled: 1-line block ×3, first 2 shown]
	v_mul_f64 v[60:61], v[88:89], s[10:11]
	v_mul_f64 v[64:65], v[42:43], s[4:5]
	;; [unrolled: 1-line block ×3, first 2 shown]
	v_fma_f64 v[70:71], v[8:9], s[4:5], v[90:91]
	v_fma_f64 v[16:17], v[16:17], s[6:7], v[36:37]
	v_mul_f64 v[36:37], v[18:19], s[0:1]
	v_fma_f64 v[2:3], v[8:9], s[10:11], v[2:3]
	v_mul_f64 v[18:19], v[18:19], s[16:17]
	;; [unrolled: 2-line block ×3, first 2 shown]
	v_mul_f64 v[38:39], v[38:39], s[18:19]
	v_fma_f64 v[24:25], v[66:67], s[6:7], v[28:29]
	v_fma_f64 v[57:58], v[66:67], s[6:7], v[32:33]
	;; [unrolled: 1-line block ×4, first 2 shown]
	v_add_f64 v[6:7], v[22:23], v[14:15]
	v_cmp_gt_u32_e64 s0, 54, v48
	v_fma_f64 v[28:29], v[72:73], s[6:7], v[40:41]
	v_fma_f64 v[44:45], v[72:73], s[6:7], v[44:45]
	;; [unrolled: 1-line block ×10, first 2 shown]
	v_add_f64 v[10:11], v[22:23], -v[14:15]
	v_fma_f64 v[60:61], v[8:9], s[18:19], v[30:31]
	v_fma_f64 v[64:65], v[8:9], s[4:5], v[38:39]
	v_add_f64 v[8:9], v[20:21], -v[12:13]
	v_add_f64 v[12:13], v[24:25], v[32:33]
	v_add_f64 v[14:15], v[28:29], v[40:41]
	;; [unrolled: 1-line block ×3, first 2 shown]
	v_add_f64 v[20:21], v[24:25], -v[32:33]
	v_add_f64 v[18:19], v[42:43], v[46:47]
	v_add_f64 v[22:23], v[28:29], -v[40:41]
	v_add_f64 v[24:25], v[0:1], v[36:37]
	v_add_f64 v[28:29], v[26:27], -v[34:35]
	v_add_f64 v[26:27], v[2:3], v[62:63]
	v_add_f64 v[32:33], v[57:58], v[60:61]
	v_add_f64 v[34:35], v[44:45], v[64:65]
	v_add_f64 v[30:31], v[42:43], -v[46:47]
	v_add_f64 v[36:37], v[0:1], -v[36:37]
	;; [unrolled: 1-line block ×5, first 2 shown]
	v_mad_u32_u24 v40, 0x90, v48, v59
	ds_write_b128 v40, v[4:7]
	ds_write_b128 v40, v[8:11] offset:80
	ds_write_b128 v40, v[12:15] offset:16
	;; [unrolled: 1-line block ×9, first 2 shown]
	s_waitcnt lgkmcnt(0)
	s_barrier
	buffer_gl0_inv
	ds_read_b128 v[12:15], v59
	ds_read_b128 v[8:11], v59 offset:2592
	ds_read_b128 v[40:43], v59 offset:17280
	;; [unrolled: 1-line block ×8, first 2 shown]
                                        ; implicit-def: $vgpr30_vgpr31
                                        ; implicit-def: $vgpr26_vgpr27
	s_and_saveexec_b32 s1, s0
	s_cbranch_execz .LBB0_19
; %bb.18:
	ds_read_b128 v[0:3], v59 offset:7776
	ds_read_b128 v[24:27], v59 offset:16416
	;; [unrolled: 1-line block ×3, first 2 shown]
.LBB0_19:
	s_or_b32 exec_lo, exec_lo, s1
	v_and_b32_e32 v49, 0xff, v48
	v_mov_b32_e32 v80, 5
	v_mov_b32_e32 v76, 0xcccd
	s_mov_b32 s2, 0xe8584caa
	s_mov_b32 s3, 0xbfebb67a
	v_mul_lo_u16 v53, 0xcd, v49
	s_mov_b32 s5, 0x3febb67a
	v_mul_u32_u24_sdwa v58, v54, v76 dst_sel:DWORD dst_unused:UNUSED_PAD src0_sel:WORD_0 src1_sel:DWORD
	v_mul_u32_u24_sdwa v77, v56, v76 dst_sel:DWORD dst_unused:UNUSED_PAD src0_sel:WORD_0 src1_sel:DWORD
	;; [unrolled: 1-line block ×3, first 2 shown]
	v_lshrrev_b16 v53, 11, v53
	s_mov_b32 s4, s2
	v_lshrrev_b32_e32 v94, 19, v58
	v_lshrrev_b32_e32 v96, 19, v77
	v_mov_b32_e32 v98, 0x1e0
	v_mul_lo_u16 v55, v53, 10
	v_mul_lo_u16 v58, v94, 10
	;; [unrolled: 1-line block ×3, first 2 shown]
	v_sub_nc_u16 v55, v48, v55
	v_sub_nc_u16 v95, v54, v58
	;; [unrolled: 1-line block ×3, first 2 shown]
	v_lshlrev_b32_sdwa v57, v80, v55 dst_sel:DWORD dst_unused:UNUSED_PAD src0_sel:DWORD src1_sel:BYTE_0
	v_lshlrev_b32_sdwa v72, v80, v95 dst_sel:DWORD dst_unused:UNUSED_PAD src0_sel:DWORD src1_sel:WORD_0
	v_lshlrev_b32_sdwa v82, v80, v97 dst_sel:DWORD dst_unused:UNUSED_PAD src0_sel:DWORD src1_sel:WORD_0
	s_clause 0x2
	global_load_dwordx4 v[60:63], v57, s[8:9]
	global_load_dwordx4 v[64:67], v57, s[8:9] offset:16
	global_load_dwordx4 v[68:71], v72, s[8:9]
	s_waitcnt vmcnt(2) lgkmcnt(4)
	v_mul_f64 v[57:58], v[46:47], v[62:63]
	v_mul_f64 v[62:63], v[44:45], v[62:63]
	s_waitcnt vmcnt(1)
	v_mul_f64 v[76:77], v[42:43], v[66:67]
	v_mul_f64 v[66:67], v[40:41], v[66:67]
	v_fma_f64 v[57:58], v[44:45], v[60:61], v[57:58]
	v_fma_f64 v[46:47], v[46:47], v[60:61], -v[62:63]
	s_clause 0x1
	global_load_dwordx4 v[60:63], v82, s[8:9]
	global_load_dwordx4 v[72:75], v72, s[8:9] offset:16
	v_lshrrev_b32_e32 v44, 19, v78
	s_waitcnt vmcnt(2) lgkmcnt(2)
	v_mul_f64 v[78:79], v[38:39], v[70:71]
	v_mul_f64 v[70:71], v[36:37], v[70:71]
	v_fma_f64 v[76:77], v[40:41], v[64:65], v[76:77]
	v_mul_lo_u16 v45, v44, 10
	v_sub_nc_u16 v45, v52, v45
	v_lshlrev_b32_sdwa v83, v80, v45 dst_sel:DWORD dst_unused:UNUSED_PAD src0_sel:DWORD src1_sel:WORD_0
	v_fma_f64 v[80:81], v[42:43], v[64:65], -v[66:67]
	s_clause 0x1
	global_load_dwordx4 v[40:43], v82, s[8:9] offset:16
	global_load_dwordx4 v[64:67], v83, s[8:9]
	v_fma_f64 v[78:79], v[36:37], v[68:69], v[78:79]
	v_fma_f64 v[68:69], v[38:39], v[68:69], -v[70:71]
	global_load_dwordx4 v[36:39], v83, s[8:9] offset:16
	s_waitcnt vmcnt(0) lgkmcnt(0)
	s_barrier
	buffer_gl0_inv
	v_mul_f64 v[82:83], v[22:23], v[62:63]
	v_mul_f64 v[70:71], v[34:35], v[74:75]
	;; [unrolled: 1-line block ×4, first 2 shown]
	v_fma_f64 v[20:21], v[20:21], v[60:61], v[82:83]
	v_fma_f64 v[32:33], v[32:33], v[72:73], v[70:71]
	v_fma_f64 v[34:35], v[34:35], v[72:73], -v[74:75]
	v_mul_f64 v[70:71], v[18:19], v[42:43]
	v_mul_f64 v[42:43], v[16:17], v[42:43]
	;; [unrolled: 1-line block ×3, first 2 shown]
	v_fma_f64 v[22:23], v[22:23], v[60:61], -v[62:63]
	v_mul_f64 v[60:61], v[30:31], v[38:39]
	v_mul_f64 v[62:63], v[24:25], v[66:67]
	;; [unrolled: 1-line block ×3, first 2 shown]
	v_add_f64 v[66:67], v[8:9], v[78:79]
	v_add_f64 v[82:83], v[4:5], v[20:21]
	v_fma_f64 v[16:17], v[16:17], v[40:41], v[70:71]
	v_fma_f64 v[18:19], v[18:19], v[40:41], -v[42:43]
	v_fma_f64 v[24:25], v[24:25], v[64:65], v[72:73]
	v_add_f64 v[40:41], v[78:79], v[32:33]
	v_fma_f64 v[28:29], v[28:29], v[36:37], v[60:61]
	v_fma_f64 v[26:27], v[26:27], v[64:65], -v[62:63]
	v_fma_f64 v[30:31], v[30:31], v[36:37], -v[38:39]
	v_add_f64 v[36:37], v[57:58], v[76:77]
	v_add_f64 v[38:39], v[46:47], v[80:81]
	;; [unrolled: 1-line block ×5, first 2 shown]
	v_add_f64 v[57:58], v[57:58], -v[76:77]
	v_add_f64 v[46:47], v[46:47], -v[80:81]
	v_add_f64 v[72:73], v[10:11], v[68:69]
	v_add_f64 v[68:69], v[68:69], -v[34:35]
	v_add_f64 v[78:79], v[78:79], -v[32:33]
	v_add_f64 v[64:65], v[20:21], v[16:17]
	v_add_f64 v[70:71], v[22:23], v[18:19]
	;; [unrolled: 1-line block ×3, first 2 shown]
	v_add_f64 v[20:21], v[20:21], -v[16:17]
	v_add_f64 v[74:75], v[24:25], v[28:29]
	v_add_f64 v[88:89], v[2:3], v[26:27]
	;; [unrolled: 1-line block ×3, first 2 shown]
	v_fma_f64 v[36:37], v[36:37], -0.5, v[12:13]
	v_fma_f64 v[13:14], v[38:39], -0.5, v[14:15]
	v_add_f64 v[38:39], v[6:7], v[22:23]
	v_add_f64 v[22:23], v[22:23], -v[18:19]
	v_add_f64 v[90:91], v[26:27], -v[30:31]
	;; [unrolled: 1-line block ×3, first 2 shown]
	v_fma_f64 v[40:41], v[40:41], -0.5, v[8:9]
	v_fma_f64 v[42:43], v[42:43], -0.5, v[10:11]
	v_add_f64 v[9:10], v[66:67], v[32:33]
	v_add_f64 v[24:25], v[82:83], v[16:17]
	;; [unrolled: 1-line block ×3, first 2 shown]
	v_mov_b32_e32 v8, 4
	v_fma_f64 v[64:65], v[64:65], -0.5, v[4:5]
	v_fma_f64 v[70:71], v[70:71], -0.5, v[6:7]
	v_add_f64 v[4:5], v[60:61], v[76:77]
	v_add_f64 v[6:7], v[62:63], v[80:81]
	v_fma_f64 v[74:75], v[74:75], -0.5, v[0:1]
	v_add_f64 v[0:1], v[86:87], v[28:29]
	v_fma_f64 v[76:77], v[84:85], -0.5, v[2:3]
	v_add_f64 v[2:3], v[88:89], v[30:31]
	v_fma_f64 v[28:29], v[46:47], s[2:3], v[36:37]
	v_add_f64 v[26:27], v[38:39], v[18:19]
	v_fma_f64 v[30:31], v[57:58], s[4:5], v[13:14]
	v_fma_f64 v[32:33], v[46:47], s[4:5], v[36:37]
	;; [unrolled: 1-line block ×7, first 2 shown]
	v_mul_u32_u24_sdwa v13, v53, v98 dst_sel:DWORD dst_unused:UNUSED_PAD src0_sel:WORD_0 src1_sel:DWORD
	v_lshlrev_b32_sdwa v15, v8, v55 dst_sel:DWORD dst_unused:UNUSED_PAD src0_sel:DWORD src1_sel:BYTE_0
	v_mul_u32_u24_e32 v14, 0x1e0, v94
	v_lshlrev_b32_sdwa v47, v8, v95 dst_sel:DWORD dst_unused:UNUSED_PAD src0_sel:DWORD src1_sel:WORD_0
	v_mul_u32_u24_e32 v46, 0x1e0, v96
	v_fma_f64 v[60:61], v[22:23], s[2:3], v[64:65]
	v_fma_f64 v[64:65], v[22:23], s[4:5], v[64:65]
	;; [unrolled: 1-line block ×8, first 2 shown]
	v_lshlrev_b32_sdwa v53, v8, v97 dst_sel:DWORD dst_unused:UNUSED_PAD src0_sel:DWORD src1_sel:WORD_0
	v_add3_u32 v13, 0, v13, v15
	v_add3_u32 v14, 0, v14, v47
	;; [unrolled: 1-line block ×3, first 2 shown]
	ds_write_b128 v13, v[4:7]
	ds_write_b128 v13, v[28:31] offset:160
	ds_write_b128 v13, v[32:35] offset:320
	ds_write_b128 v14, v[9:12]
	ds_write_b128 v14, v[36:39] offset:160
	ds_write_b128 v14, v[40:43] offset:320
	;; [unrolled: 3-line block ×3, first 2 shown]
	s_and_saveexec_b32 s1, s0
	s_cbranch_execz .LBB0_21
; %bb.20:
	v_mul_lo_u16 v4, v44, 30
	v_lshlrev_b32_sdwa v5, v8, v45 dst_sel:DWORD dst_unused:UNUSED_PAD src0_sel:DWORD src1_sel:WORD_0
	v_lshlrev_b32_sdwa v4, v8, v4 dst_sel:DWORD dst_unused:UNUSED_PAD src0_sel:DWORD src1_sel:WORD_0
	v_add3_u32 v4, 0, v5, v4
	ds_write_b128 v4, v[0:3]
	ds_write_b128 v4, v[16:19] offset:160
	ds_write_b128 v4, v[20:23] offset:320
.LBB0_21:
	s_or_b32 exec_lo, exec_lo, s1
	s_waitcnt lgkmcnt(0)
	s_barrier
	buffer_gl0_inv
	ds_read_b128 v[12:15], v59
	ds_read_b128 v[8:11], v59 offset:2592
	ds_read_b128 v[40:43], v59 offset:17280
	;; [unrolled: 1-line block ×8, first 2 shown]
	s_and_saveexec_b32 s1, s0
	s_cbranch_execz .LBB0_23
; %bb.22:
	ds_read_b128 v[0:3], v59 offset:7776
	ds_read_b128 v[16:19], v59 offset:16416
	;; [unrolled: 1-line block ×3, first 2 shown]
.LBB0_23:
	s_or_b32 exec_lo, exec_lo, s1
	v_mul_lo_u16 v49, 0x89, v49
	v_mov_b32_e32 v55, 5
	s_mov_b32 s4, s2
	v_lshrrev_b16 v53, 12, v49
	v_mul_lo_u16 v49, v53, 30
	v_sub_nc_u16 v102, v48, v49
	v_lshlrev_b32_sdwa v49, v55, v102 dst_sel:DWORD dst_unused:UNUSED_PAD src0_sel:DWORD src1_sel:BYTE_0
	s_clause 0x1
	global_load_dwordx4 v[60:63], v49, s[8:9] offset:320
	global_load_dwordx4 v[64:67], v49, s[8:9] offset:336
	v_mov_b32_e32 v49, 0x8889
	v_mul_u32_u24_sdwa v57, v54, v49 dst_sel:DWORD dst_unused:UNUSED_PAD src0_sel:WORD_0 src1_sel:DWORD
	v_mul_u32_u24_sdwa v73, v56, v49 dst_sel:DWORD dst_unused:UNUSED_PAD src0_sel:WORD_0 src1_sel:DWORD
	;; [unrolled: 1-line block ×3, first 2 shown]
	v_lshrrev_b32_e32 v103, 20, v57
	v_lshrrev_b32_e32 v105, 20, v73
	;; [unrolled: 1-line block ×3, first 2 shown]
	v_mul_lo_u16 v57, v103, 30
	v_mul_lo_u16 v73, v105, 30
	v_sub_nc_u16 v104, v54, v57
	v_sub_nc_u16 v106, v56, v73
	v_lshlrev_b32_sdwa v72, v55, v104 dst_sel:DWORD dst_unused:UNUSED_PAD src0_sel:DWORD src1_sel:WORD_0
	v_lshlrev_b32_sdwa v76, v55, v106 dst_sel:DWORD dst_unused:UNUSED_PAD src0_sel:DWORD src1_sel:WORD_0
	global_load_dwordx4 v[68:71], v72, s[8:9] offset:320
	s_waitcnt vmcnt(2) lgkmcnt(4)
	v_mul_f64 v[57:58], v[46:47], v[62:63]
	v_mul_f64 v[62:63], v[44:45], v[62:63]
	s_waitcnt vmcnt(1)
	v_mul_f64 v[80:81], v[42:43], v[66:67]
	v_mul_f64 v[66:67], v[40:41], v[66:67]
	v_fma_f64 v[57:58], v[44:45], v[60:61], v[57:58]
	v_fma_f64 v[45:46], v[46:47], v[60:61], -v[62:63]
	s_clause 0x2
	global_load_dwordx4 v[60:63], v76, s[8:9] offset:320
	global_load_dwordx4 v[72:75], v72, s[8:9] offset:336
	;; [unrolled: 1-line block ×3, first 2 shown]
	v_mul_lo_u16 v44, v49, 30
	v_fma_f64 v[80:81], v[40:41], v[64:65], v[80:81]
	v_fma_f64 v[82:83], v[42:43], v[64:65], -v[66:67]
	v_sub_nc_u16 v44, v52, v44
	s_waitcnt vmcnt(3) lgkmcnt(2)
	v_mul_f64 v[84:85], v[38:39], v[70:71]
	v_mul_f64 v[70:71], v[36:37], v[70:71]
	v_lshlrev_b32_sdwa v47, v55, v44 dst_sel:DWORD dst_unused:UNUSED_PAD src0_sel:DWORD src1_sel:WORD_0
	s_clause 0x1
	global_load_dwordx4 v[40:43], v47, s[8:9] offset:320
	global_load_dwordx4 v[64:67], v47, s[8:9] offset:336
	s_waitcnt vmcnt(0) lgkmcnt(0)
	s_barrier
	buffer_gl0_inv
	v_fma_f64 v[36:37], v[36:37], v[68:69], v[84:85]
	v_fma_f64 v[38:39], v[38:39], v[68:69], -v[70:71]
	v_mul_f64 v[68:69], v[34:35], v[74:75]
	v_mul_f64 v[70:71], v[32:33], v[74:75]
	;; [unrolled: 1-line block ×4, first 2 shown]
	v_fma_f64 v[32:33], v[32:33], v[72:73], v[68:69]
	v_fma_f64 v[34:35], v[34:35], v[72:73], -v[70:71]
	v_mul_f64 v[68:69], v[26:27], v[78:79]
	v_mul_f64 v[70:71], v[24:25], v[78:79]
	;; [unrolled: 1-line block ×4, first 2 shown]
	v_fma_f64 v[28:29], v[28:29], v[60:61], v[74:75]
	v_fma_f64 v[30:31], v[30:31], v[60:61], -v[62:63]
	v_mul_f64 v[42:43], v[16:17], v[42:43]
	v_mul_f64 v[60:61], v[20:21], v[66:67]
	v_add_f64 v[92:93], v[36:37], -v[32:33]
	v_add_f64 v[90:91], v[38:39], -v[34:35]
	v_fma_f64 v[24:25], v[24:25], v[76:77], v[68:69]
	v_fma_f64 v[26:27], v[26:27], v[76:77], -v[70:71]
	v_fma_f64 v[62:63], v[16:17], v[40:41], v[72:73]
	v_fma_f64 v[66:67], v[20:21], v[64:65], v[78:79]
	v_add_f64 v[68:69], v[14:15], v[45:46]
	v_add_f64 v[72:73], v[8:9], v[36:37]
	v_fma_f64 v[17:18], v[18:19], v[40:41], -v[42:43]
	v_fma_f64 v[21:22], v[22:23], v[64:65], -v[60:61]
	v_add_f64 v[19:20], v[57:58], v[80:81]
	v_add_f64 v[40:41], v[45:46], v[82:83]
	;; [unrolled: 1-line block ×7, first 2 shown]
	v_add_f64 v[45:46], v[45:46], -v[82:83]
	v_add_f64 v[57:58], v[57:58], -v[80:81]
	v_mov_b32_e32 v23, 0x5a0
	v_mov_b32_e32 v16, 4
	v_add_f64 v[70:71], v[28:29], v[24:25]
	v_add_f64 v[74:75], v[30:31], v[26:27]
	;; [unrolled: 1-line block ×4, first 2 shown]
	v_add_f64 v[94:95], v[30:31], -v[26:27]
	v_add_f64 v[96:97], v[28:29], -v[24:25]
	;; [unrolled: 1-line block ×3, first 2 shown]
	v_add_f64 v[86:87], v[17:18], v[21:22]
	v_fma_f64 v[12:13], v[19:20], -0.5, v[12:13]
	v_fma_f64 v[14:15], v[40:41], -0.5, v[14:15]
	v_add_f64 v[40:41], v[6:7], v[30:31]
	v_fma_f64 v[8:9], v[42:43], -0.5, v[8:9]
	v_fma_f64 v[10:11], v[60:61], -0.5, v[10:11]
	v_add_f64 v[42:43], v[2:3], v[17:18]
	v_add_f64 v[98:99], v[17:18], -v[21:22]
	v_add_f64 v[17:18], v[64:65], v[80:81]
	v_add_f64 v[19:20], v[68:69], v[82:83]
	;; [unrolled: 1-line block ×4, first 2 shown]
	v_mul_u32_u24_sdwa v23, v53, v23 dst_sel:DWORD dst_unused:UNUSED_PAD src0_sel:WORD_0 src1_sel:DWORD
	v_fma_f64 v[70:71], v[70:71], -0.5, v[4:5]
	v_fma_f64 v[74:75], v[74:75], -0.5, v[6:7]
	v_add_f64 v[28:29], v[88:89], v[66:67]
	v_fma_f64 v[78:79], v[78:79], -0.5, v[0:1]
	v_add_f64 v[0:1], v[84:85], v[24:25]
	v_fma_f64 v[80:81], v[86:87], -0.5, v[2:3]
	v_fma_f64 v[36:37], v[45:46], s[2:3], v[12:13]
	v_fma_f64 v[38:39], v[57:58], s[4:5], v[14:15]
	v_add_f64 v[2:3], v[40:41], v[26:27]
	v_fma_f64 v[40:41], v[45:46], s[4:5], v[12:13]
	v_fma_f64 v[60:61], v[90:91], s[2:3], v[8:9]
	v_add_f64 v[30:31], v[42:43], v[21:22]
	v_fma_f64 v[42:43], v[57:58], s[2:3], v[14:15]
	v_fma_f64 v[64:65], v[90:91], s[4:5], v[8:9]
	;; [unrolled: 1-line block ×4, first 2 shown]
	v_lshlrev_b32_sdwa v21, v16, v102 dst_sel:DWORD dst_unused:UNUSED_PAD src0_sel:DWORD src1_sel:BYTE_0
	v_mul_u32_u24_e32 v22, 0x5a0, v103
	v_mul_u32_u24_e32 v45, 0x5a0, v105
	v_lshlrev_b32_sdwa v46, v16, v106 dst_sel:DWORD dst_unused:UNUSED_PAD src0_sel:DWORD src1_sel:WORD_0
	v_fma_f64 v[4:5], v[94:95], s[2:3], v[70:71]
	v_fma_f64 v[8:9], v[94:95], s[4:5], v[70:71]
	;; [unrolled: 1-line block ×6, first 2 shown]
	v_add3_u32 v21, 0, v23, v21
	v_fma_f64 v[14:15], v[100:101], s[4:5], v[80:81]
	v_fma_f64 v[26:27], v[100:101], s[2:3], v[80:81]
	v_lshlrev_b32_sdwa v23, v16, v104 dst_sel:DWORD dst_unused:UNUSED_PAD src0_sel:DWORD src1_sel:WORD_0
	v_add3_u32 v22, 0, v22, v23
	v_add3_u32 v23, 0, v45, v46
	ds_write_b128 v21, v[17:20]
	ds_write_b128 v21, v[36:39] offset:480
	ds_write_b128 v21, v[40:43] offset:960
	ds_write_b128 v22, v[32:35]
	ds_write_b128 v22, v[60:63] offset:480
	ds_write_b128 v22, v[64:67] offset:960
	;; [unrolled: 3-line block ×3, first 2 shown]
	s_and_saveexec_b32 s1, s0
	s_cbranch_execz .LBB0_25
; %bb.24:
	v_mul_lo_u16 v17, 0x5a, v49
	v_lshlrev_b32_sdwa v18, v16, v44 dst_sel:DWORD dst_unused:UNUSED_PAD src0_sel:DWORD src1_sel:WORD_0
	v_lshlrev_b32_sdwa v16, v16, v17 dst_sel:DWORD dst_unused:UNUSED_PAD src0_sel:DWORD src1_sel:WORD_0
	v_add3_u32 v16, 0, v18, v16
	ds_write_b128 v16, v[28:31]
	ds_write_b128 v16, v[12:15] offset:480
	ds_write_b128 v16, v[24:27] offset:960
.LBB0_25:
	s_or_b32 exec_lo, exec_lo, s1
	s_waitcnt lgkmcnt(0)
	s_barrier
	buffer_gl0_inv
	ds_read_b128 v[16:19], v59
	ds_read_b128 v[20:23], v59 offset:4320
	ds_read_b128 v[44:47], v59 offset:8640
	;; [unrolled: 1-line block ×5, first 2 shown]
	v_cmp_gt_u32_e64 s1, 0x6c, v48
	s_and_saveexec_b32 s2, s1
	s_cbranch_execz .LBB0_27
; %bb.26:
	ds_read_b128 v[0:3], v59 offset:2592
	ds_read_b128 v[4:7], v59 offset:6912
	;; [unrolled: 1-line block ×6, first 2 shown]
.LBB0_27:
	s_or_b32 exec_lo, exec_lo, s2
	v_add_nc_u32_e32 v49, 0xffffffa6, v48
	v_cmp_gt_u32_e64 s2, 0x5a, v48
	v_mov_b32_e32 v58, 0
	v_mov_b32_e32 v76, 5
	v_cndmask_b32_e64 v55, v49, v48, s2
	v_mov_b32_e32 v49, 0x2d83
	v_mul_i32_i24_e32 v57, 5, v55
	v_mul_u32_u24_sdwa v49, v54, v49 dst_sel:DWORD dst_unused:UNUSED_PAD src0_sel:WORD_0 src1_sel:DWORD
	v_lshlrev_b32_e32 v55, 4, v55
	v_lshlrev_b64 v[57:58], 4, v[57:58]
	v_lshrrev_b32_e32 v49, 20, v49
	v_mul_lo_u16 v53, 0x5a, v49
	v_add_co_u32 v57, s2, s8, v57
	v_add_co_ci_u32_e64 v58, s2, s9, v58, s2
	v_sub_nc_u16 v53, v54, v53
	s_clause 0x3
	global_load_dwordx4 v[60:63], v[57:58], off offset:1296
	global_load_dwordx4 v[64:67], v[57:58], off offset:1312
	;; [unrolled: 1-line block ×4, first 2 shown]
	v_mul_u32_u24_sdwa v76, v53, v76 dst_sel:DWORD dst_unused:UNUSED_PAD src0_sel:WORD_0 src1_sel:DWORD
	s_mov_b32 s2, 0xe8584caa
	s_mov_b32 s3, 0xbfebb67a
	s_mov_b32 s4, s2
	v_lshlrev_b32_e32 v92, 4, v76
	s_clause 0x2
	global_load_dwordx4 v[76:79], v[57:58], off offset:1280
	global_load_dwordx4 v[80:83], v92, s[8:9] offset:1312
	global_load_dwordx4 v[84:87], v92, s[8:9] offset:1344
	s_waitcnt vmcnt(6) lgkmcnt(3)
	v_mul_f64 v[57:58], v[46:47], v[62:63]
	v_mul_f64 v[62:63], v[44:45], v[62:63]
	s_waitcnt vmcnt(5) lgkmcnt(2)
	v_mul_f64 v[88:89], v[42:43], v[66:67]
	v_mul_f64 v[66:67], v[40:41], v[66:67]
	v_fma_f64 v[57:58], v[44:45], v[60:61], v[57:58]
	v_fma_f64 v[90:91], v[46:47], v[60:61], -v[62:63]
	s_clause 0x1
	global_load_dwordx4 v[44:47], v92, s[8:9] offset:1280
	global_load_dwordx4 v[60:63], v92, s[8:9] offset:1296
	v_fma_f64 v[88:89], v[40:41], v[64:65], v[88:89]
	v_fma_f64 v[64:65], v[42:43], v[64:65], -v[66:67]
	global_load_dwordx4 v[40:43], v92, s[8:9] offset:1328
	s_waitcnt vmcnt(7) lgkmcnt(1)
	v_mul_f64 v[66:67], v[38:39], v[70:71]
	v_mul_f64 v[70:71], v[36:37], v[70:71]
	s_waitcnt vmcnt(0) lgkmcnt(0)
	s_barrier
	buffer_gl0_inv
	v_fma_f64 v[36:37], v[36:37], v[68:69], v[66:67]
	v_fma_f64 v[38:39], v[38:39], v[68:69], -v[70:71]
	v_mul_f64 v[66:67], v[34:35], v[74:75]
	v_mul_f64 v[68:69], v[32:33], v[74:75]
	v_mul_f64 v[70:71], v[28:29], v[82:83]
	v_mul_f64 v[74:75], v[24:25], v[86:87]
	v_fma_f64 v[32:33], v[32:33], v[72:73], v[66:67]
	v_fma_f64 v[34:35], v[34:35], v[72:73], -v[68:69]
	v_mul_f64 v[66:67], v[30:31], v[82:83]
	v_mul_f64 v[68:69], v[20:21], v[78:79]
	;; [unrolled: 1-line block ×3, first 2 shown]
	v_fma_f64 v[30:31], v[30:31], v[80:81], -v[70:71]
	v_fma_f64 v[26:27], v[26:27], v[84:85], -v[74:75]
	v_fma_f64 v[28:29], v[28:29], v[80:81], v[66:67]
	v_mul_f64 v[66:67], v[22:23], v[78:79]
	v_fma_f64 v[22:23], v[22:23], v[76:77], -v[68:69]
	v_add_f64 v[68:69], v[64:65], v[34:35]
	v_fma_f64 v[24:25], v[24:25], v[84:85], v[72:73]
	v_add_f64 v[74:75], v[30:31], v[26:27]
	v_fma_f64 v[20:21], v[20:21], v[76:77], v[66:67]
	v_add_f64 v[66:67], v[88:89], v[32:33]
	v_add_f64 v[76:77], v[88:89], -v[32:33]
	v_fma_f64 v[68:69], v[68:69], -0.5, v[22:23]
	v_add_f64 v[22:23], v[22:23], v[64:65]
	v_fma_f64 v[66:67], v[66:67], -0.5, v[20:21]
	v_add_f64 v[20:21], v[20:21], v[88:89]
	v_fma_f64 v[78:79], v[76:77], s[4:5], v[68:69]
	v_fma_f64 v[68:69], v[76:77], s[2:3], v[68:69]
	v_mul_f64 v[82:83], v[4:5], v[46:47]
	v_mul_f64 v[70:71], v[10:11], v[62:63]
	;; [unrolled: 1-line block ×6, first 2 shown]
	v_fma_f64 v[6:7], v[6:7], v[44:45], -v[82:83]
	v_fma_f64 v[8:9], v[8:9], v[60:61], v[70:71]
	v_fma_f64 v[10:11], v[10:11], v[60:61], -v[62:63]
	v_fma_f64 v[4:5], v[4:5], v[44:45], v[46:47]
	v_fma_f64 v[12:13], v[12:13], v[40:41], v[72:73]
	v_fma_f64 v[14:15], v[14:15], v[40:41], -v[42:43]
	v_add_f64 v[40:41], v[28:29], v[24:25]
	v_add_f64 v[42:43], v[28:29], -v[24:25]
	v_add_f64 v[46:47], v[16:17], v[57:58]
	v_add_f64 v[60:61], v[57:58], v[36:37]
	v_add_f64 v[70:71], v[18:19], v[90:91]
	v_add_f64 v[72:73], v[90:91], v[38:39]
	v_add_f64 v[82:83], v[30:31], -v[26:27]
	v_add_f64 v[62:63], v[90:91], -v[38:39]
	;; [unrolled: 1-line block ×3, first 2 shown]
	v_fma_f64 v[44:45], v[74:75], -0.5, v[6:7]
	v_add_f64 v[74:75], v[64:65], -v[34:35]
	v_add_f64 v[6:7], v[6:7], v[30:31]
	v_add_f64 v[76:77], v[8:9], v[12:13]
	;; [unrolled: 1-line block ×3, first 2 shown]
	v_fma_f64 v[40:41], v[40:41], -0.5, v[4:5]
	v_add_f64 v[84:85], v[10:11], -v[14:15]
	v_add_f64 v[10:11], v[2:3], v[10:11]
	v_add_f64 v[4:5], v[4:5], v[28:29]
	;; [unrolled: 1-line block ×3, first 2 shown]
	v_fma_f64 v[28:29], v[60:61], -0.5, v[16:17]
	v_add_f64 v[60:61], v[70:71], v[38:39]
	v_fma_f64 v[18:19], v[72:73], -0.5, v[18:19]
	v_mul_f64 v[38:39], v[78:79], s[2:3]
	v_mul_f64 v[70:71], v[78:79], 0.5
	v_add_f64 v[78:79], v[20:21], v[32:33]
	v_fma_f64 v[64:65], v[42:43], s[4:5], v[44:45]
	v_fma_f64 v[42:43], v[42:43], s[2:3], v[44:45]
	v_add_f64 v[44:45], v[0:1], v[8:9]
	v_add_f64 v[8:9], v[8:9], -v[12:13]
	v_fma_f64 v[30:31], v[74:75], s[2:3], v[66:67]
	v_fma_f64 v[36:37], v[74:75], s[4:5], v[66:67]
	v_mul_f64 v[66:67], v[68:69], s[2:3]
	v_fma_f64 v[0:1], v[76:77], -0.5, v[0:1]
	v_fma_f64 v[2:3], v[80:81], -0.5, v[2:3]
	v_fma_f64 v[72:73], v[82:83], s[2:3], v[40:41]
	v_fma_f64 v[40:41], v[82:83], s[4:5], v[40:41]
	v_mul_f64 v[68:69], v[68:69], -0.5
	v_add_f64 v[80:81], v[22:23], v[34:35]
	v_add_f64 v[16:17], v[10:11], v[14:15]
	;; [unrolled: 1-line block ×4, first 2 shown]
	v_fma_f64 v[4:5], v[62:63], s[2:3], v[28:29]
	v_fma_f64 v[6:7], v[62:63], s[4:5], v[28:29]
	;; [unrolled: 1-line block ×4, first 2 shown]
	v_mul_f64 v[74:75], v[64:65], s[2:3]
	v_mul_f64 v[76:77], v[42:43], s[2:3]
	v_mul_f64 v[64:65], v[64:65], 0.5
	v_mul_f64 v[42:43], v[42:43], -0.5
	v_add_f64 v[12:13], v[44:45], v[12:13]
	v_fma_f64 v[82:83], v[30:31], 0.5, v[38:39]
	v_fma_f64 v[66:67], v[36:37], -0.5, v[66:67]
	v_fma_f64 v[70:71], v[30:31], s[4:5], v[70:71]
	v_fma_f64 v[18:19], v[84:85], s[2:3], v[0:1]
	;; [unrolled: 1-line block ×6, first 2 shown]
	v_add_f64 v[36:37], v[46:47], v[78:79]
	v_add_f64 v[38:39], v[60:61], v[80:81]
	v_add_f64 v[2:3], v[16:17], -v[22:23]
	v_cmp_lt_u32_e64 s2, 0x59, v48
	v_fma_f64 v[24:25], v[72:73], 0.5, v[74:75]
	v_fma_f64 v[26:27], v[40:41], -0.5, v[76:77]
	v_fma_f64 v[32:33], v[72:73], s[4:5], v[64:65]
	v_fma_f64 v[34:35], v[40:41], s[4:5], v[42:43]
	v_add_f64 v[40:41], v[46:47], -v[78:79]
	v_add_f64 v[42:43], v[60:61], -v[80:81]
	;; [unrolled: 1-line block ×3, first 2 shown]
	v_add_f64 v[44:45], v[4:5], v[82:83]
	v_add_f64 v[60:61], v[6:7], v[66:67]
	;; [unrolled: 1-line block ×3, first 2 shown]
	v_add_f64 v[64:65], v[4:5], -v[82:83]
	v_add_f64 v[68:69], v[6:7], -v[66:67]
	;; [unrolled: 1-line block ×3, first 2 shown]
	v_add_f64 v[62:63], v[57:58], v[86:87]
	v_add_f64 v[70:71], v[57:58], -v[86:87]
	v_cndmask_b32_e64 v57, 0, 0x21c0, s2
	v_add3_u32 v55, 0, v57, v55
	ds_write_b128 v55, v[36:39]
	ds_write_b128 v55, v[44:47] offset:1440
	ds_write_b128 v55, v[60:63] offset:2880
	;; [unrolled: 1-line block ×5, first 2 shown]
	v_add_f64 v[4:5], v[18:19], -v[24:25]
	v_add_f64 v[8:9], v[20:21], -v[26:27]
	;; [unrolled: 1-line block ×4, first 2 shown]
	s_and_saveexec_b32 s2, s1
	s_cbranch_execz .LBB0_29
; %bb.28:
	v_add_f64 v[16:17], v[16:17], v[22:23]
	v_add_f64 v[14:15], v[12:13], v[14:15]
	;; [unrolled: 1-line block ×6, first 2 shown]
	v_mov_b32_e32 v12, 4
	v_mul_lo_u16 v13, 0x21c, v49
	v_lshlrev_b32_sdwa v18, v12, v53 dst_sel:DWORD dst_unused:UNUSED_PAD src0_sel:DWORD src1_sel:WORD_0
	v_lshlrev_b32_sdwa v12, v12, v13 dst_sel:DWORD dst_unused:UNUSED_PAD src0_sel:DWORD src1_sel:WORD_0
	v_add3_u32 v12, 0, v18, v12
	ds_write_b128 v12, v[0:3] offset:4320
	ds_write_b128 v12, v[4:7] offset:5760
	ds_write_b128 v12, v[14:17]
	ds_write_b128 v12, v[32:35] offset:1440
	ds_write_b128 v12, v[28:31] offset:2880
	;; [unrolled: 1-line block ×3, first 2 shown]
.LBB0_29:
	s_or_b32 exec_lo, exec_lo, s2
	s_waitcnt lgkmcnt(0)
	s_barrier
	buffer_gl0_inv
	ds_read_b128 v[20:23], v59
	ds_read_b128 v[12:15], v59 offset:2592
	ds_read_b128 v[36:39], v59 offset:17280
	;; [unrolled: 1-line block ×8, first 2 shown]
	s_and_saveexec_b32 s1, s0
	s_cbranch_execz .LBB0_31
; %bb.30:
	ds_read_b128 v[0:3], v59 offset:7776
	ds_read_b128 v[4:7], v59 offset:16416
	;; [unrolled: 1-line block ×3, first 2 shown]
.LBB0_31:
	s_or_b32 exec_lo, exec_lo, s1
	v_lshlrev_b32_e32 v57, 1, v48
	v_mov_b32_e32 v58, 0
	s_mov_b32 s2, 0xe8584caa
	s_mov_b32 s3, 0xbfebb67a
	;; [unrolled: 1-line block ×3, first 2 shown]
	v_lshlrev_b64 v[60:61], 4, v[57:58]
	v_lshlrev_b32_e32 v57, 1, v54
	v_lshlrev_b64 v[64:65], 4, v[57:58]
	v_add_co_u32 v49, s1, s8, v60
	v_add_co_ci_u32_e64 v55, s1, s9, v61, s1
	v_lshlrev_b32_e32 v57, 1, v56
	v_add_co_u32 v53, s1, 0x2000, v49
	v_add_co_ci_u32_e64 v54, s1, 0, v55, s1
	v_add_co_u32 v60, s1, 0x2120, v49
	v_add_co_ci_u32_e64 v61, s1, 0, v55, s1
	;; [unrolled: 2-line block ×3, first 2 shown]
	v_lshlrev_b64 v[64:65], 4, v[57:58]
	v_add_co_u32 v68, s1, 0x2120, v49
	v_add_co_ci_u32_e64 v69, s1, 0, v66, s1
	s_clause 0x1
	global_load_dwordx4 v[53:56], v[53:54], off offset:288
	global_load_dwordx4 v[60:63], v[60:61], off offset:16
	v_add_co_u32 v57, s1, s8, v64
	v_add_co_ci_u32_e64 v67, s1, s9, v65, s1
	v_add_co_u32 v64, s1, 0x2000, v49
	v_add_co_ci_u32_e64 v65, s1, 0, v66, s1
	;; [unrolled: 2-line block ×4, first 2 shown]
	s_clause 0x3
	global_load_dwordx4 v[64:67], v[64:65], off offset:288
	global_load_dwordx4 v[68:71], v[68:69], off offset:16
	;; [unrolled: 1-line block ×4, first 2 shown]
	s_waitcnt vmcnt(0) lgkmcnt(0)
	s_barrier
	buffer_gl0_inv
	v_mul_f64 v[80:81], v[46:47], v[55:56]
	v_mul_f64 v[82:83], v[38:39], v[62:63]
	;; [unrolled: 1-line block ×12, first 2 shown]
	v_fma_f64 v[44:45], v[44:45], v[53:54], v[80:81]
	v_fma_f64 v[36:37], v[36:37], v[60:61], v[82:83]
	v_fma_f64 v[46:47], v[46:47], v[53:54], -v[55:56]
	v_fma_f64 v[38:39], v[38:39], v[60:61], -v[62:63]
	v_fma_f64 v[40:41], v[40:41], v[64:65], v[84:85]
	v_fma_f64 v[24:25], v[24:25], v[68:69], v[86:87]
	v_fma_f64 v[42:43], v[42:43], v[64:65], -v[66:67]
	v_fma_f64 v[26:27], v[26:27], v[68:69], -v[70:71]
	;; [unrolled: 4-line block ×3, first 2 shown]
	v_add_f64 v[68:69], v[20:21], v[44:45]
	v_add_f64 v[53:54], v[44:45], v[36:37]
	v_add_f64 v[44:45], v[44:45], -v[36:37]
	v_add_f64 v[55:56], v[46:47], v[38:39]
	v_add_f64 v[70:71], v[46:47], -v[38:39]
	v_add_f64 v[46:47], v[22:23], v[46:47]
	v_add_f64 v[72:73], v[12:13], v[40:41]
	v_add_f64 v[60:61], v[40:41], v[24:25]
	v_add_f64 v[74:75], v[14:15], v[42:43]
	v_add_f64 v[62:63], v[42:43], v[26:27]
	v_add_f64 v[76:77], v[16:17], v[28:29]
	v_add_f64 v[64:65], v[28:29], v[32:33]
	v_add_f64 v[78:79], v[18:19], v[30:31]
	v_add_f64 v[66:67], v[30:31], v[34:35]
	v_add_f64 v[42:43], v[42:43], -v[26:27]
	v_fma_f64 v[53:54], v[53:54], -0.5, v[20:21]
	v_add_f64 v[40:41], v[40:41], -v[24:25]
	v_fma_f64 v[55:56], v[55:56], -0.5, v[22:23]
	v_add_f64 v[80:81], v[30:31], -v[34:35]
	v_add_f64 v[82:83], v[28:29], -v[32:33]
	v_fma_f64 v[60:61], v[60:61], -0.5, v[12:13]
	v_add_f64 v[12:13], v[68:69], v[36:37]
	v_fma_f64 v[62:63], v[62:63], -0.5, v[14:15]
	v_add_f64 v[14:15], v[46:47], v[38:39]
	;; [unrolled: 2-line block ×4, first 2 shown]
	v_add_f64 v[20:21], v[76:77], v[32:33]
	v_add_f64 v[22:23], v[78:79], v[34:35]
	v_fma_f64 v[24:25], v[70:71], s[2:3], v[53:54]
	v_fma_f64 v[26:27], v[44:45], s[4:5], v[55:56]
	;; [unrolled: 1-line block ×12, first 2 shown]
	ds_write_b128 v59, v[12:15]
	ds_write_b128 v59, v[16:19] offset:2592
	ds_write_b128 v59, v[20:23] offset:5184
	ds_write_b128 v59, v[24:27] offset:8640
	ds_write_b128 v59, v[28:31] offset:17280
	ds_write_b128 v59, v[32:35] offset:11232
	ds_write_b128 v59, v[36:39] offset:19872
	ds_write_b128 v59, v[40:43] offset:13824
	ds_write_b128 v59, v[44:47] offset:22464
	s_and_saveexec_b32 s1, s0
	s_cbranch_execz .LBB0_33
; %bb.32:
	v_subrev_nc_u32_e32 v12, 54, v48
	v_cndmask_b32_e64 v12, v12, v52, s0
	v_lshlrev_b32_e32 v57, 1, v12
	v_lshlrev_b64 v[12:13], 4, v[57:58]
	v_add_co_u32 v14, s0, s8, v12
	v_add_co_ci_u32_e64 v15, s0, s9, v13, s0
	v_add_co_u32 v12, s0, 0x2000, v14
	v_add_co_ci_u32_e64 v13, s0, 0, v15, s0
	;; [unrolled: 2-line block ×3, first 2 shown]
	s_clause 0x1
	global_load_dwordx4 v[12:15], v[12:13], off offset:288
	global_load_dwordx4 v[16:19], v[16:17], off offset:16
	s_waitcnt vmcnt(1)
	v_mul_f64 v[20:21], v[4:5], v[14:15]
	s_waitcnt vmcnt(0)
	v_mul_f64 v[22:23], v[8:9], v[18:19]
	v_mul_f64 v[14:15], v[6:7], v[14:15]
	;; [unrolled: 1-line block ×3, first 2 shown]
	v_fma_f64 v[6:7], v[6:7], v[12:13], -v[20:21]
	v_fma_f64 v[10:11], v[10:11], v[16:17], -v[22:23]
	v_fma_f64 v[4:5], v[4:5], v[12:13], v[14:15]
	v_fma_f64 v[8:9], v[8:9], v[16:17], v[18:19]
	v_add_f64 v[18:19], v[2:3], v[6:7]
	v_add_f64 v[12:13], v[6:7], v[10:11]
	v_add_f64 v[20:21], v[6:7], -v[10:11]
	v_add_f64 v[14:15], v[4:5], v[8:9]
	v_add_f64 v[16:17], v[4:5], -v[8:9]
	v_add_f64 v[4:5], v[0:1], v[4:5]
	v_fma_f64 v[12:13], v[12:13], -0.5, v[2:3]
	v_add_f64 v[2:3], v[18:19], v[10:11]
	v_fma_f64 v[14:15], v[14:15], -0.5, v[0:1]
	v_add_f64 v[0:1], v[4:5], v[8:9]
	v_fma_f64 v[10:11], v[16:17], s[4:5], v[12:13]
	v_fma_f64 v[6:7], v[16:17], s[2:3], v[12:13]
	;; [unrolled: 1-line block ×4, first 2 shown]
	ds_write_b128 v59, v[0:3] offset:7776
	ds_write_b128 v59, v[8:11] offset:16416
	;; [unrolled: 1-line block ×3, first 2 shown]
.LBB0_33:
	s_or_b32 exec_lo, exec_lo, s1
	s_waitcnt lgkmcnt(0)
	s_barrier
	buffer_gl0_inv
	s_and_saveexec_b32 s0, vcc_lo
	s_cbranch_execz .LBB0_35
; %bb.34:
	v_mov_b32_e32 v49, 0
	v_lshl_add_u32 v30, v48, 4, 0
	v_add_nc_u32_e32 v8, 0xa2, v48
	v_add_co_u32 v31, vcc_lo, s12, v50
	v_mov_b32_e32 v9, v49
	v_lshlrev_b64 v[12:13], 4, v[48:49]
	ds_read_b128 v[0:3], v30
	ds_read_b128 v[4:7], v30 offset:2592
	v_add_co_ci_u32_e32 v32, vcc_lo, s13, v51, vcc_lo
	v_lshlrev_b64 v[14:15], 4, v[8:9]
	ds_read_b128 v[8:11], v30 offset:5184
	v_add_nc_u32_e32 v16, 0x144, v48
	v_mov_b32_e32 v17, v49
	v_add_co_u32 v20, vcc_lo, v31, v12
	v_add_co_ci_u32_e32 v21, vcc_lo, v32, v13, vcc_lo
	v_lshlrev_b64 v[12:13], 4, v[16:17]
	v_add_nc_u32_e32 v16, 0x1e6, v48
	v_add_co_u32 v22, vcc_lo, v31, v14
	v_add_co_ci_u32_e32 v23, vcc_lo, v32, v15, vcc_lo
	v_lshlrev_b64 v[26:27], 4, v[16:17]
	ds_read_b128 v[16:19], v30 offset:10368
	v_add_co_u32 v24, vcc_lo, v31, v12
	v_add_nc_u32_e32 v28, 0x288, v48
	v_mov_b32_e32 v29, v49
	v_add_co_ci_u32_e32 v25, vcc_lo, v32, v13, vcc_lo
	ds_read_b128 v[12:15], v30 offset:7776
	s_waitcnt lgkmcnt(4)
	global_store_dwordx4 v[20:21], v[0:3], off
	s_waitcnt lgkmcnt(3)
	global_store_dwordx4 v[22:23], v[4:7], off
	;; [unrolled: 2-line block ×3, first 2 shown]
	v_lshlrev_b64 v[0:1], 4, v[28:29]
	v_add_co_u32 v2, vcc_lo, v31, v26
	v_add_co_ci_u32_e32 v3, vcc_lo, v32, v27, vcc_lo
	v_add_nc_u32_e32 v4, 0x32a, v48
	v_mov_b32_e32 v5, v49
	v_add_co_u32 v6, vcc_lo, v31, v0
	v_add_co_ci_u32_e32 v7, vcc_lo, v32, v1, vcc_lo
	v_add_nc_u32_e32 v8, 0x3cc, v48
	v_mov_b32_e32 v9, v49
	v_lshlrev_b64 v[4:5], 4, v[4:5]
	s_waitcnt lgkmcnt(1)
	global_store_dwordx4 v[6:7], v[16:19], off
	v_add_nc_u32_e32 v24, 0x510, v48
	v_mov_b32_e32 v25, v49
	v_lshlrev_b64 v[6:7], 4, v[8:9]
	s_waitcnt lgkmcnt(0)
	global_store_dwordx4 v[2:3], v[12:15], off
	v_add_co_u32 v20, vcc_lo, v31, v4
	v_add_nc_u32_e32 v12, 0x46e, v48
	v_mov_b32_e32 v13, v49
	v_add_co_ci_u32_e32 v21, vcc_lo, v32, v5, vcc_lo
	v_add_co_u32 v22, vcc_lo, v31, v6
	ds_read_b128 v[0:3], v30 offset:12960
	v_add_co_ci_u32_e32 v23, vcc_lo, v32, v7, vcc_lo
	ds_read_b128 v[4:7], v30 offset:15552
	ds_read_b128 v[8:11], v30 offset:18144
	v_lshlrev_b64 v[26:27], 4, v[12:13]
	ds_read_b128 v[12:15], v30 offset:20736
	ds_read_b128 v[16:19], v30 offset:23328
	v_add_nc_u32_e32 v48, 0x5b2, v48
	v_lshlrev_b64 v[24:25], 4, v[24:25]
	v_add_co_u32 v26, vcc_lo, v31, v26
	v_lshlrev_b64 v[28:29], 4, v[48:49]
	v_add_co_ci_u32_e32 v27, vcc_lo, v32, v27, vcc_lo
	v_add_co_u32 v24, vcc_lo, v31, v24
	v_add_co_ci_u32_e32 v25, vcc_lo, v32, v25, vcc_lo
	v_add_co_u32 v28, vcc_lo, v31, v28
	v_add_co_ci_u32_e32 v29, vcc_lo, v32, v29, vcc_lo
	s_waitcnt lgkmcnt(4)
	global_store_dwordx4 v[20:21], v[0:3], off
	s_waitcnt lgkmcnt(3)
	global_store_dwordx4 v[22:23], v[4:7], off
	s_waitcnt lgkmcnt(2)
	global_store_dwordx4 v[26:27], v[8:11], off
	s_waitcnt lgkmcnt(1)
	global_store_dwordx4 v[24:25], v[12:15], off
	s_waitcnt lgkmcnt(0)
	global_store_dwordx4 v[28:29], v[16:19], off
.LBB0_35:
	s_endpgm
	.section	.rodata,"a",@progbits
	.p2align	6, 0x0
	.amdhsa_kernel fft_rtc_back_len1620_factors_10_3_3_6_3_wgs_162_tpt_162_halfLds_dp_ip_CI_unitstride_sbrr_C2R_dirReg
		.amdhsa_group_segment_fixed_size 0
		.amdhsa_private_segment_fixed_size 0
		.amdhsa_kernarg_size 88
		.amdhsa_user_sgpr_count 6
		.amdhsa_user_sgpr_private_segment_buffer 1
		.amdhsa_user_sgpr_dispatch_ptr 0
		.amdhsa_user_sgpr_queue_ptr 0
		.amdhsa_user_sgpr_kernarg_segment_ptr 1
		.amdhsa_user_sgpr_dispatch_id 0
		.amdhsa_user_sgpr_flat_scratch_init 0
		.amdhsa_user_sgpr_private_segment_size 0
		.amdhsa_wavefront_size32 1
		.amdhsa_uses_dynamic_stack 0
		.amdhsa_system_sgpr_private_segment_wavefront_offset 0
		.amdhsa_system_sgpr_workgroup_id_x 1
		.amdhsa_system_sgpr_workgroup_id_y 0
		.amdhsa_system_sgpr_workgroup_id_z 0
		.amdhsa_system_sgpr_workgroup_info 0
		.amdhsa_system_vgpr_workitem_id 0
		.amdhsa_next_free_vgpr 107
		.amdhsa_next_free_sgpr 21
		.amdhsa_reserve_vcc 1
		.amdhsa_reserve_flat_scratch 0
		.amdhsa_float_round_mode_32 0
		.amdhsa_float_round_mode_16_64 0
		.amdhsa_float_denorm_mode_32 3
		.amdhsa_float_denorm_mode_16_64 3
		.amdhsa_dx10_clamp 1
		.amdhsa_ieee_mode 1
		.amdhsa_fp16_overflow 0
		.amdhsa_workgroup_processor_mode 1
		.amdhsa_memory_ordered 1
		.amdhsa_forward_progress 0
		.amdhsa_shared_vgpr_count 0
		.amdhsa_exception_fp_ieee_invalid_op 0
		.amdhsa_exception_fp_denorm_src 0
		.amdhsa_exception_fp_ieee_div_zero 0
		.amdhsa_exception_fp_ieee_overflow 0
		.amdhsa_exception_fp_ieee_underflow 0
		.amdhsa_exception_fp_ieee_inexact 0
		.amdhsa_exception_int_div_zero 0
	.end_amdhsa_kernel
	.text
.Lfunc_end0:
	.size	fft_rtc_back_len1620_factors_10_3_3_6_3_wgs_162_tpt_162_halfLds_dp_ip_CI_unitstride_sbrr_C2R_dirReg, .Lfunc_end0-fft_rtc_back_len1620_factors_10_3_3_6_3_wgs_162_tpt_162_halfLds_dp_ip_CI_unitstride_sbrr_C2R_dirReg
                                        ; -- End function
	.section	.AMDGPU.csdata,"",@progbits
; Kernel info:
; codeLenInByte = 10456
; NumSgprs: 23
; NumVgprs: 107
; ScratchSize: 0
; MemoryBound: 0
; FloatMode: 240
; IeeeMode: 1
; LDSByteSize: 0 bytes/workgroup (compile time only)
; SGPRBlocks: 2
; VGPRBlocks: 13
; NumSGPRsForWavesPerEU: 23
; NumVGPRsForWavesPerEU: 107
; Occupancy: 9
; WaveLimiterHint : 1
; COMPUTE_PGM_RSRC2:SCRATCH_EN: 0
; COMPUTE_PGM_RSRC2:USER_SGPR: 6
; COMPUTE_PGM_RSRC2:TRAP_HANDLER: 0
; COMPUTE_PGM_RSRC2:TGID_X_EN: 1
; COMPUTE_PGM_RSRC2:TGID_Y_EN: 0
; COMPUTE_PGM_RSRC2:TGID_Z_EN: 0
; COMPUTE_PGM_RSRC2:TIDIG_COMP_CNT: 0
	.text
	.p2alignl 6, 3214868480
	.fill 48, 4, 3214868480
	.type	__hip_cuid_7b644fc2bc1dd7c7,@object ; @__hip_cuid_7b644fc2bc1dd7c7
	.section	.bss,"aw",@nobits
	.globl	__hip_cuid_7b644fc2bc1dd7c7
__hip_cuid_7b644fc2bc1dd7c7:
	.byte	0                               ; 0x0
	.size	__hip_cuid_7b644fc2bc1dd7c7, 1

	.ident	"AMD clang version 19.0.0git (https://github.com/RadeonOpenCompute/llvm-project roc-6.4.0 25133 c7fe45cf4b819c5991fe208aaa96edf142730f1d)"
	.section	".note.GNU-stack","",@progbits
	.addrsig
	.addrsig_sym __hip_cuid_7b644fc2bc1dd7c7
	.amdgpu_metadata
---
amdhsa.kernels:
  - .args:
      - .actual_access:  read_only
        .address_space:  global
        .offset:         0
        .size:           8
        .value_kind:     global_buffer
      - .offset:         8
        .size:           8
        .value_kind:     by_value
      - .actual_access:  read_only
        .address_space:  global
        .offset:         16
        .size:           8
        .value_kind:     global_buffer
      - .actual_access:  read_only
        .address_space:  global
        .offset:         24
        .size:           8
        .value_kind:     global_buffer
      - .offset:         32
        .size:           8
        .value_kind:     by_value
      - .actual_access:  read_only
        .address_space:  global
        .offset:         40
        .size:           8
        .value_kind:     global_buffer
      - .actual_access:  read_only
        .address_space:  global
        .offset:         48
        .size:           8
        .value_kind:     global_buffer
      - .offset:         56
        .size:           4
        .value_kind:     by_value
      - .actual_access:  read_only
        .address_space:  global
        .offset:         64
        .size:           8
        .value_kind:     global_buffer
      - .actual_access:  read_only
        .address_space:  global
        .offset:         72
        .size:           8
        .value_kind:     global_buffer
      - .address_space:  global
        .offset:         80
        .size:           8
        .value_kind:     global_buffer
    .group_segment_fixed_size: 0
    .kernarg_segment_align: 8
    .kernarg_segment_size: 88
    .language:       OpenCL C
    .language_version:
      - 2
      - 0
    .max_flat_workgroup_size: 162
    .name:           fft_rtc_back_len1620_factors_10_3_3_6_3_wgs_162_tpt_162_halfLds_dp_ip_CI_unitstride_sbrr_C2R_dirReg
    .private_segment_fixed_size: 0
    .sgpr_count:     23
    .sgpr_spill_count: 0
    .symbol:         fft_rtc_back_len1620_factors_10_3_3_6_3_wgs_162_tpt_162_halfLds_dp_ip_CI_unitstride_sbrr_C2R_dirReg.kd
    .uniform_work_group_size: 1
    .uses_dynamic_stack: false
    .vgpr_count:     107
    .vgpr_spill_count: 0
    .wavefront_size: 32
    .workgroup_processor_mode: 1
amdhsa.target:   amdgcn-amd-amdhsa--gfx1030
amdhsa.version:
  - 1
  - 2
...

	.end_amdgpu_metadata
